;; amdgpu-corpus repo=ROCm/rocFFT kind=compiled arch=gfx1030 opt=O3
	.text
	.amdgcn_target "amdgcn-amd-amdhsa--gfx1030"
	.amdhsa_code_object_version 6
	.protected	fft_rtc_fwd_len275_factors_11_5_5_wgs_55_tpt_55_half_ip_CI_sbrr_dirReg ; -- Begin function fft_rtc_fwd_len275_factors_11_5_5_wgs_55_tpt_55_half_ip_CI_sbrr_dirReg
	.globl	fft_rtc_fwd_len275_factors_11_5_5_wgs_55_tpt_55_half_ip_CI_sbrr_dirReg
	.p2align	8
	.type	fft_rtc_fwd_len275_factors_11_5_5_wgs_55_tpt_55_half_ip_CI_sbrr_dirReg,@function
fft_rtc_fwd_len275_factors_11_5_5_wgs_55_tpt_55_half_ip_CI_sbrr_dirReg: ; @fft_rtc_fwd_len275_factors_11_5_5_wgs_55_tpt_55_half_ip_CI_sbrr_dirReg
; %bb.0:
	s_clause 0x2
	s_load_dwordx2 s[14:15], s[4:5], 0x18
	s_load_dwordx4 s[8:11], s[4:5], 0x0
	s_load_dwordx2 s[2:3], s[4:5], 0x50
	v_mul_u32_u24_e32 v1, 0x4a8, v0
	v_mov_b32_e32 v3, 0
	v_add_nc_u32_sdwa v5, s6, v1 dst_sel:DWORD dst_unused:UNUSED_PAD src0_sel:DWORD src1_sel:WORD_1
	v_mov_b32_e32 v1, 0
	v_mov_b32_e32 v6, v3
	v_mov_b32_e32 v2, 0
	s_waitcnt lgkmcnt(0)
	s_load_dwordx2 s[12:13], s[14:15], 0x0
	v_cmp_lt_u64_e64 s0, s[10:11], 2
	s_and_b32 vcc_lo, exec_lo, s0
	s_cbranch_vccnz .LBB0_8
; %bb.1:
	s_load_dwordx2 s[0:1], s[4:5], 0x10
	v_mov_b32_e32 v1, 0
	s_add_u32 s6, s14, 8
	v_mov_b32_e32 v2, 0
	s_addc_u32 s7, s15, 0
	s_mov_b64 s[18:19], 1
	s_waitcnt lgkmcnt(0)
	s_add_u32 s16, s0, 8
	s_addc_u32 s17, s1, 0
.LBB0_2:                                ; =>This Inner Loop Header: Depth=1
	s_load_dwordx2 s[20:21], s[16:17], 0x0
                                        ; implicit-def: $vgpr7_vgpr8
	s_mov_b32 s0, exec_lo
	s_waitcnt lgkmcnt(0)
	v_or_b32_e32 v4, s21, v6
	v_cmpx_ne_u64_e32 0, v[3:4]
	s_xor_b32 s1, exec_lo, s0
	s_cbranch_execz .LBB0_4
; %bb.3:                                ;   in Loop: Header=BB0_2 Depth=1
	v_cvt_f32_u32_e32 v4, s20
	v_cvt_f32_u32_e32 v7, s21
	s_sub_u32 s0, 0, s20
	s_subb_u32 s22, 0, s21
	v_fmac_f32_e32 v4, 0x4f800000, v7
	v_rcp_f32_e32 v4, v4
	v_mul_f32_e32 v4, 0x5f7ffffc, v4
	v_mul_f32_e32 v7, 0x2f800000, v4
	v_trunc_f32_e32 v7, v7
	v_fmac_f32_e32 v4, 0xcf800000, v7
	v_cvt_u32_f32_e32 v7, v7
	v_cvt_u32_f32_e32 v4, v4
	v_mul_lo_u32 v8, s0, v7
	v_mul_hi_u32 v9, s0, v4
	v_mul_lo_u32 v10, s22, v4
	v_add_nc_u32_e32 v8, v9, v8
	v_mul_lo_u32 v9, s0, v4
	v_add_nc_u32_e32 v8, v8, v10
	v_mul_hi_u32 v10, v4, v9
	v_mul_lo_u32 v11, v4, v8
	v_mul_hi_u32 v12, v4, v8
	v_mul_hi_u32 v13, v7, v9
	v_mul_lo_u32 v9, v7, v9
	v_mul_hi_u32 v14, v7, v8
	v_mul_lo_u32 v8, v7, v8
	v_add_co_u32 v10, vcc_lo, v10, v11
	v_add_co_ci_u32_e32 v11, vcc_lo, 0, v12, vcc_lo
	v_add_co_u32 v9, vcc_lo, v10, v9
	v_add_co_ci_u32_e32 v9, vcc_lo, v11, v13, vcc_lo
	v_add_co_ci_u32_e32 v10, vcc_lo, 0, v14, vcc_lo
	v_add_co_u32 v8, vcc_lo, v9, v8
	v_add_co_ci_u32_e32 v9, vcc_lo, 0, v10, vcc_lo
	v_add_co_u32 v4, vcc_lo, v4, v8
	v_add_co_ci_u32_e32 v7, vcc_lo, v7, v9, vcc_lo
	v_mul_hi_u32 v8, s0, v4
	v_mul_lo_u32 v10, s22, v4
	v_mul_lo_u32 v9, s0, v7
	v_add_nc_u32_e32 v8, v8, v9
	v_mul_lo_u32 v9, s0, v4
	v_add_nc_u32_e32 v8, v8, v10
	v_mul_hi_u32 v10, v4, v9
	v_mul_lo_u32 v11, v4, v8
	v_mul_hi_u32 v12, v4, v8
	v_mul_hi_u32 v13, v7, v9
	v_mul_lo_u32 v9, v7, v9
	v_mul_hi_u32 v14, v7, v8
	v_mul_lo_u32 v8, v7, v8
	v_add_co_u32 v10, vcc_lo, v10, v11
	v_add_co_ci_u32_e32 v11, vcc_lo, 0, v12, vcc_lo
	v_add_co_u32 v9, vcc_lo, v10, v9
	v_add_co_ci_u32_e32 v9, vcc_lo, v11, v13, vcc_lo
	v_add_co_ci_u32_e32 v10, vcc_lo, 0, v14, vcc_lo
	v_add_co_u32 v8, vcc_lo, v9, v8
	v_add_co_ci_u32_e32 v9, vcc_lo, 0, v10, vcc_lo
	v_add_co_u32 v4, vcc_lo, v4, v8
	v_add_co_ci_u32_e32 v11, vcc_lo, v7, v9, vcc_lo
	v_mul_hi_u32 v13, v5, v4
	v_mad_u64_u32 v[9:10], null, v6, v4, 0
	v_mad_u64_u32 v[7:8], null, v5, v11, 0
	;; [unrolled: 1-line block ×3, first 2 shown]
	v_add_co_u32 v4, vcc_lo, v13, v7
	v_add_co_ci_u32_e32 v7, vcc_lo, 0, v8, vcc_lo
	v_add_co_u32 v4, vcc_lo, v4, v9
	v_add_co_ci_u32_e32 v4, vcc_lo, v7, v10, vcc_lo
	v_add_co_ci_u32_e32 v7, vcc_lo, 0, v12, vcc_lo
	v_add_co_u32 v4, vcc_lo, v4, v11
	v_add_co_ci_u32_e32 v9, vcc_lo, 0, v7, vcc_lo
	v_mul_lo_u32 v10, s21, v4
	v_mad_u64_u32 v[7:8], null, s20, v4, 0
	v_mul_lo_u32 v11, s20, v9
	v_sub_co_u32 v7, vcc_lo, v5, v7
	v_add3_u32 v8, v8, v11, v10
	v_sub_nc_u32_e32 v10, v6, v8
	v_subrev_co_ci_u32_e64 v10, s0, s21, v10, vcc_lo
	v_add_co_u32 v11, s0, v4, 2
	v_add_co_ci_u32_e64 v12, s0, 0, v9, s0
	v_sub_co_u32 v13, s0, v7, s20
	v_sub_co_ci_u32_e32 v8, vcc_lo, v6, v8, vcc_lo
	v_subrev_co_ci_u32_e64 v10, s0, 0, v10, s0
	v_cmp_le_u32_e32 vcc_lo, s20, v13
	v_cmp_eq_u32_e64 s0, s21, v8
	v_cndmask_b32_e64 v13, 0, -1, vcc_lo
	v_cmp_le_u32_e32 vcc_lo, s21, v10
	v_cndmask_b32_e64 v14, 0, -1, vcc_lo
	v_cmp_le_u32_e32 vcc_lo, s20, v7
	;; [unrolled: 2-line block ×3, first 2 shown]
	v_cndmask_b32_e64 v15, 0, -1, vcc_lo
	v_cmp_eq_u32_e32 vcc_lo, s21, v10
	v_cndmask_b32_e64 v7, v15, v7, s0
	v_cndmask_b32_e32 v10, v14, v13, vcc_lo
	v_add_co_u32 v13, vcc_lo, v4, 1
	v_add_co_ci_u32_e32 v14, vcc_lo, 0, v9, vcc_lo
	v_cmp_ne_u32_e32 vcc_lo, 0, v10
	v_cndmask_b32_e32 v8, v14, v12, vcc_lo
	v_cndmask_b32_e32 v10, v13, v11, vcc_lo
	v_cmp_ne_u32_e32 vcc_lo, 0, v7
	v_cndmask_b32_e32 v8, v9, v8, vcc_lo
	v_cndmask_b32_e32 v7, v4, v10, vcc_lo
.LBB0_4:                                ;   in Loop: Header=BB0_2 Depth=1
	s_andn2_saveexec_b32 s0, s1
	s_cbranch_execz .LBB0_6
; %bb.5:                                ;   in Loop: Header=BB0_2 Depth=1
	v_cvt_f32_u32_e32 v4, s20
	s_sub_i32 s1, 0, s20
	v_rcp_iflag_f32_e32 v4, v4
	v_mul_f32_e32 v4, 0x4f7ffffe, v4
	v_cvt_u32_f32_e32 v4, v4
	v_mul_lo_u32 v7, s1, v4
	v_mul_hi_u32 v7, v4, v7
	v_add_nc_u32_e32 v4, v4, v7
	v_mul_hi_u32 v4, v5, v4
	v_mul_lo_u32 v7, v4, s20
	v_add_nc_u32_e32 v8, 1, v4
	v_sub_nc_u32_e32 v7, v5, v7
	v_subrev_nc_u32_e32 v9, s20, v7
	v_cmp_le_u32_e32 vcc_lo, s20, v7
	v_cndmask_b32_e32 v7, v7, v9, vcc_lo
	v_cndmask_b32_e32 v4, v4, v8, vcc_lo
	v_cmp_le_u32_e32 vcc_lo, s20, v7
	v_add_nc_u32_e32 v8, 1, v4
	v_cndmask_b32_e32 v7, v4, v8, vcc_lo
	v_mov_b32_e32 v8, v3
.LBB0_6:                                ;   in Loop: Header=BB0_2 Depth=1
	s_or_b32 exec_lo, exec_lo, s0
	s_load_dwordx2 s[0:1], s[6:7], 0x0
	v_mul_lo_u32 v4, v8, s20
	v_mul_lo_u32 v11, v7, s21
	v_mad_u64_u32 v[9:10], null, v7, s20, 0
	s_add_u32 s18, s18, 1
	s_addc_u32 s19, s19, 0
	s_add_u32 s6, s6, 8
	s_addc_u32 s7, s7, 0
	;; [unrolled: 2-line block ×3, first 2 shown]
	v_add3_u32 v4, v10, v11, v4
	v_sub_co_u32 v5, vcc_lo, v5, v9
	v_sub_co_ci_u32_e32 v4, vcc_lo, v6, v4, vcc_lo
	s_waitcnt lgkmcnt(0)
	v_mul_lo_u32 v6, s1, v5
	v_mul_lo_u32 v4, s0, v4
	v_mad_u64_u32 v[1:2], null, s0, v5, v[1:2]
	v_cmp_ge_u64_e64 s0, s[18:19], s[10:11]
	s_and_b32 vcc_lo, exec_lo, s0
	v_add3_u32 v2, v6, v2, v4
	s_cbranch_vccnz .LBB0_9
; %bb.7:                                ;   in Loop: Header=BB0_2 Depth=1
	v_mov_b32_e32 v5, v7
	v_mov_b32_e32 v6, v8
	s_branch .LBB0_2
.LBB0_8:
	v_mov_b32_e32 v8, v6
	v_mov_b32_e32 v7, v5
.LBB0_9:
	s_lshl_b64 s[0:1], s[10:11], 3
	v_mul_hi_u32 v3, 0x4a7904b, v0
	s_add_u32 s0, s14, s0
	s_addc_u32 s1, s15, s1
	v_mov_b32_e32 v5, 0
	s_load_dwordx2 s[0:1], s[0:1], 0x0
	s_load_dwordx2 s[4:5], s[4:5], 0x20
                                        ; implicit-def: $vgpr25
                                        ; implicit-def: $vgpr21
                                        ; implicit-def: $vgpr24
                                        ; implicit-def: $vgpr19
                                        ; implicit-def: $vgpr23
                                        ; implicit-def: $vgpr17
                                        ; implicit-def: $vgpr22
                                        ; implicit-def: $vgpr15
                                        ; implicit-def: $vgpr20
                                        ; implicit-def: $vgpr13
                                        ; implicit-def: $vgpr10
                                        ; implicit-def: $vgpr12
                                        ; implicit-def: $vgpr14
                                        ; implicit-def: $vgpr16
                                        ; implicit-def: $vgpr18
                                        ; implicit-def: $vgpr11
	v_mul_u32_u24_e32 v9, 55, v3
	v_mov_b32_e32 v3, 0
	v_sub_nc_u32_e32 v0, v0, v9
                                        ; implicit-def: $vgpr9
	s_waitcnt lgkmcnt(0)
	v_mul_lo_u32 v4, s0, v8
	v_mul_lo_u32 v6, s1, v7
	v_mad_u64_u32 v[1:2], null, s0, v7, v[1:2]
	v_cmp_gt_u64_e32 vcc_lo, s[4:5], v[7:8]
                                        ; implicit-def: $vgpr7
                                        ; implicit-def: $vgpr8
	v_add3_u32 v2, v6, v2, v4
	v_mov_b32_e32 v4, 0
                                        ; implicit-def: $vgpr6
	s_and_saveexec_b32 s1, vcc_lo
	s_cbranch_execz .LBB0_13
; %bb.10:
	v_cmp_gt_u32_e64 s0, 25, v0
	v_mov_b32_e32 v4, 0
	v_mov_b32_e32 v5, 0
                                        ; implicit-def: $vgpr11
                                        ; implicit-def: $vgpr18
                                        ; implicit-def: $vgpr9
                                        ; implicit-def: $vgpr16
                                        ; implicit-def: $vgpr8
                                        ; implicit-def: $vgpr14
                                        ; implicit-def: $vgpr7
                                        ; implicit-def: $vgpr12
                                        ; implicit-def: $vgpr6
                                        ; implicit-def: $vgpr10
                                        ; implicit-def: $vgpr13
                                        ; implicit-def: $vgpr20
                                        ; implicit-def: $vgpr15
                                        ; implicit-def: $vgpr22
                                        ; implicit-def: $vgpr17
                                        ; implicit-def: $vgpr23
                                        ; implicit-def: $vgpr19
                                        ; implicit-def: $vgpr24
                                        ; implicit-def: $vgpr21
                                        ; implicit-def: $vgpr25
	s_and_saveexec_b32 s4, s0
	s_cbranch_execz .LBB0_12
; %bb.11:
	v_add_nc_u32_e32 v14, 25, v0
	v_mad_u64_u32 v[3:4], null, s12, v0, 0
	v_add_nc_u32_e32 v16, 50, v0
	v_add_nc_u32_e32 v17, 0x4b, v0
	v_mad_u64_u32 v[5:6], null, s12, v14, 0
	v_lshlrev_b64 v[10:11], 2, v[1:2]
	v_add_nc_u32_e32 v18, 0x64, v0
	v_mad_u64_u32 v[12:13], null, s12, v17, 0
	v_add_nc_u32_e32 v19, 0x7d, v0
	v_add_nc_u32_e32 v20, 0x96, v0
	v_mad_u64_u32 v[7:8], null, s13, v0, v[4:5]
	v_mad_u64_u32 v[8:9], null, s12, v16, 0
	v_add_co_u32 v34, s0, s2, v10
	v_add_co_ci_u32_e64 v35, s0, s3, v11, s0
	v_mov_b32_e32 v4, v7
	v_add_nc_u32_e32 v23, 0xaf, v0
	v_mov_b32_e32 v7, v9
	v_add_nc_u32_e32 v25, 0xc8, v0
	v_add_nc_u32_e32 v30, 0xe1, v0
	v_lshlrev_b64 v[3:4], 2, v[3:4]
	v_mad_u64_u32 v[14:15], null, s13, v14, v[6:7]
	v_mad_u64_u32 v[9:10], null, s13, v16, v[7:8]
	;; [unrolled: 1-line block ×3, first 2 shown]
	v_mov_b32_e32 v7, v13
	v_add_co_u32 v3, s0, v34, v3
	v_mov_b32_e32 v6, v14
	v_add_co_ci_u32_e64 v4, s0, v35, v4, s0
	v_mad_u64_u32 v[13:14], null, s13, v17, v[7:8]
	v_lshlrev_b64 v[7:8], 2, v[8:9]
	v_mov_b32_e32 v9, v11
	v_mad_u64_u32 v[14:15], null, s12, v19, 0
	v_lshlrev_b64 v[5:6], 2, v[5:6]
	v_mad_u64_u32 v[16:17], null, s13, v18, v[9:10]
	v_lshlrev_b64 v[12:13], 2, v[12:13]
	v_mov_b32_e32 v9, v15
	v_add_co_u32 v5, s0, v34, v5
	v_add_co_ci_u32_e64 v6, s0, v35, v6, s0
	v_mov_b32_e32 v11, v16
	v_mad_u64_u32 v[15:16], null, s13, v19, v[9:10]
	v_mad_u64_u32 v[16:17], null, s12, v20, 0
	v_add_co_u32 v7, s0, v34, v7
	v_add_co_ci_u32_e64 v8, s0, v35, v8, s0
	v_add_co_u32 v12, s0, v34, v12
	v_lshlrev_b64 v[9:10], 2, v[10:11]
	v_mov_b32_e32 v11, v17
	v_mad_u64_u32 v[18:19], null, s12, v23, 0
	v_lshlrev_b64 v[14:15], 2, v[14:15]
	v_add_co_ci_u32_e64 v13, s0, v35, v13, s0
	v_mad_u64_u32 v[20:21], null, s13, v20, v[11:12]
	v_mad_u64_u32 v[21:22], null, s12, v25, 0
	v_mov_b32_e32 v11, v19
	v_add_co_u32 v9, s0, v34, v9
	v_add_co_ci_u32_e64 v10, s0, v35, v10, s0
	v_mov_b32_e32 v17, v20
	v_mad_u64_u32 v[19:20], null, s13, v23, v[11:12]
	v_mov_b32_e32 v11, v22
	v_add_nc_u32_e32 v20, 0xfa, v0
	v_mad_u64_u32 v[23:24], null, s12, v30, 0
	v_add_co_u32 v28, s0, v34, v14
	v_mad_u64_u32 v[25:26], null, s13, v25, v[11:12]
	v_mad_u64_u32 v[26:27], null, s12, v20, 0
	v_mov_b32_e32 v11, v24
	v_add_co_ci_u32_e64 v29, s0, v35, v15, s0
	v_lshlrev_b64 v[14:15], 2, v[16:17]
	v_mov_b32_e32 v22, v25
	v_mad_u64_u32 v[16:17], null, s13, v30, v[11:12]
	v_mov_b32_e32 v11, v27
	v_add_co_u32 v30, s0, v34, v14
	v_add_co_ci_u32_e64 v31, s0, v35, v15, s0
	v_lshlrev_b64 v[14:15], 2, v[18:19]
	v_mad_u64_u32 v[17:18], null, s13, v20, v[11:12]
	v_mov_b32_e32 v24, v16
	v_lshlrev_b64 v[18:19], 2, v[21:22]
	v_add_co_u32 v32, s0, v34, v14
	v_add_co_ci_u32_e64 v33, s0, v35, v15, s0
	v_mov_b32_e32 v27, v17
	v_lshlrev_b64 v[14:15], 2, v[23:24]
	v_add_co_u32 v22, s0, v34, v18
	v_add_co_ci_u32_e64 v23, s0, v35, v19, s0
	v_lshlrev_b64 v[16:17], 2, v[26:27]
	v_add_co_u32 v24, s0, v34, v14
	v_add_co_ci_u32_e64 v25, s0, v35, v15, s0
	v_add_co_u32 v26, s0, v34, v16
	v_add_co_ci_u32_e64 v27, s0, v35, v17, s0
	s_clause 0xa
	global_load_dword v4, v[3:4], off
	global_load_dword v21, v[5:6], off
	;; [unrolled: 1-line block ×11, first 2 shown]
	s_waitcnt vmcnt(10)
	v_lshrrev_b32_e32 v5, 16, v4
	s_waitcnt vmcnt(9)
	v_lshrrev_b32_e32 v25, 16, v21
	;; [unrolled: 2-line block ×11, first 2 shown]
.LBB0_12:
	s_or_b32 exec_lo, exec_lo, s4
	v_mov_b32_e32 v3, v0
.LBB0_13:
	s_or_b32 exec_lo, exec_lo, s1
	s_mov_b32 s1, exec_lo
	v_cmpx_gt_u32_e32 25, v0
	s_cbranch_execz .LBB0_15
; %bb.14:
	v_sub_f16_e32 v26, v21, v6
	v_add_f16_e32 v27, v25, v10
	v_sub_f16_e32 v28, v19, v7
	v_add_f16_e32 v29, v24, v12
	v_sub_f16_e32 v30, v17, v8
	v_mul_f16_e32 v31, 0xb482, v26
	v_add_f16_e32 v37, v21, v6
	v_mul_f16_e32 v35, 0x3853, v28
	v_add_f16_e32 v32, v23, v14
	v_sub_f16_e32 v38, v25, v10
	v_fmamk_f16 v36, v27, 0xbbad, v31
	v_mul_f16_e32 v39, 0xba0c, v30
	v_fmamk_f16 v40, v29, 0x3abb, v35
	v_mul_f16_e32 v41, 0xbbad, v37
	v_add_f16_e32 v42, v19, v7
	v_add_f16_e32 v36, v5, v36
	v_sub_f16_e32 v43, v24, v12
	v_fmamk_f16 v44, v32, 0xb93d, v39
	v_add_f16_e32 v46, v17, v8
	v_mul_f16_e32 v45, 0x3abb, v42
	v_add_f16_e32 v36, v36, v40
	v_fmamk_f16 v40, v38, 0x3482, v41
	v_sub_f16_e32 v33, v15, v9
	v_mul_f16_e32 v48, 0xb93d, v46
	v_sub_f16_e32 v49, v23, v14
	v_add_f16_e32 v36, v36, v44
	v_add_f16_e32 v40, v4, v40
	v_fmamk_f16 v44, v43, 0xb853, v45
	v_add_f16_e32 v50, v15, v9
	v_add_f16_e32 v34, v22, v16
	v_mul_f16_e32 v47, 0x3b47, v33
	v_sub_f16_e32 v52, v13, v11
	v_add_f16_e32 v40, v40, v44
	v_fmamk_f16 v44, v49, 0x3a0c, v48
	v_mul_f16_e32 v53, 0x36a6, v50
	v_sub_f16_e32 v54, v22, v16
	v_fmamk_f16 v51, v34, 0x36a6, v47
	v_add_f16_e32 v55, v13, v11
	v_mul_f16_e32 v56, 0xbbeb, v52
	v_add_f16_e32 v57, v20, v18
	v_add_f16_e32 v40, v40, v44
	v_fmamk_f16 v44, v54, 0xbb47, v53
	v_mul_f16_e32 v59, 0xba0c, v26
	v_mul_f16_e32 v58, 0xb08e, v55
	v_sub_f16_e32 v60, v20, v18
	v_add_f16_e32 v36, v36, v51
	v_fmamk_f16 v51, v57, 0xb08e, v56
	v_add_f16_e32 v40, v40, v44
	v_fmamk_f16 v44, v27, 0xb93d, v59
	v_mul_f16_e32 v61, 0x3beb, v28
	v_fmamk_f16 v62, v60, 0x3beb, v58
	v_add_f16_e32 v36, v36, v51
	v_mul_f16_e32 v51, 0xb93d, v37
	v_add_f16_e32 v44, v5, v44
	v_fmamk_f16 v63, v29, 0xb08e, v61
	v_mul_f16_e32 v64, 0xb853, v30
	v_add_f16_e32 v40, v40, v62
	v_fmamk_f16 v62, v38, 0x3a0c, v51
	;; [unrolled: 3-line block ×5, first 2 shown]
	v_mul_f16_e32 v69, 0x3b47, v52
	v_fma_f16 v31, v27, 0xbbad, -v31
	v_fmac_f16_e32 v41, 0xb482, v38
	v_add_f16_e32 v62, v62, v67
	v_fmamk_f16 v67, v49, 0x3853, v68
	v_mul_f16_e32 v70, 0xbbad, v50
	v_add_f16_e32 v44, v44, v63
	v_fmamk_f16 v63, v57, 0x36a6, v69
	v_mul_f16_e32 v71, 0xbbeb, v26
	v_add_f16_e32 v31, v5, v31
	v_fma_f16 v35, v29, 0x3abb, -v35
	v_add_f16_e32 v41, v4, v41
	v_fmac_f16_e32 v45, 0x3853, v43
	v_add_f16_e32 v62, v62, v67
	v_fmamk_f16 v67, v54, 0x3482, v70
	v_mul_f16_e32 v72, 0x36a6, v55
	v_add_f16_e32 v44, v44, v63
	v_fmamk_f16 v63, v27, 0xb08e, v71
	v_mul_f16_e32 v73, 0x3482, v28
	v_add_f16_e32 v31, v31, v35
	v_fma_f16 v35, v32, 0xb93d, -v39
	v_add_f16_e32 v39, v41, v45
	v_fmac_f16_e32 v48, 0xba0c, v49
	v_add_f16_e32 v62, v62, v67
	v_fmamk_f16 v67, v60, 0xbb47, v72
	v_mul_f16_e32 v74, 0xb08e, v37
	v_add_f16_e32 v63, v5, v63
	v_fmamk_f16 v75, v29, 0xbbad, v73
	v_mul_f16_e32 v76, 0x3b47, v30
	v_mul_f16_e32 v83, 0xbb47, v26
	v_add_f16_e32 v31, v31, v35
	v_fma_f16 v35, v34, 0x36a6, -v47
	v_add_f16_e32 v39, v39, v48
	v_fmac_f16_e32 v53, 0x3b47, v54
	v_add_f16_e32 v62, v62, v67
	v_fmamk_f16 v67, v38, 0x3beb, v74
	v_mul_f16_e32 v77, 0xbbad, v42
	v_add_f16_e32 v63, v63, v75
	v_fmamk_f16 v75, v32, 0x36a6, v76
	v_mul_f16_e32 v78, 0xb853, v33
	v_fmamk_f16 v84, v27, 0x36a6, v83
	v_mul_f16_e32 v85, 0xba0c, v28
	v_fma_f16 v59, v27, 0xb93d, -v59
	v_add_f16_e32 v31, v31, v35
	v_fma_f16 v35, v57, 0xb08e, -v56
	v_add_f16_e32 v39, v39, v53
	v_fmac_f16_e32 v58, 0xbbeb, v60
	v_add_f16_e32 v25, v5, v25
	v_add_f16_e32 v21, v4, v21
	;; [unrolled: 1-line block ×3, first 2 shown]
	v_fmamk_f16 v79, v43, 0xb482, v77
	v_mul_f16_e32 v80, 0x36a6, v46
	v_add_f16_e32 v63, v63, v75
	v_fmamk_f16 v75, v34, 0x3abb, v78
	v_mul_f16_e32 v81, 0xba0c, v52
	v_add_f16_e32 v84, v5, v84
	;; [unrolled: 3-line block ×3, first 2 shown]
	v_fma_f16 v61, v29, 0xb08e, -v61
	v_add_f16_e32 v31, v31, v35
	v_add_f16_e32 v35, v39, v58
	v_fma_f16 v39, v27, 0xb08e, -v71
	v_fmac_f16_e32 v74, 0xbbeb, v38
	v_add_f16_e32 v24, v25, v24
	v_add_f16_e32 v19, v21, v19
	;; [unrolled: 1-line block ×3, first 2 shown]
	v_fmamk_f16 v79, v49, 0xbb47, v80
	v_mul_f16_e32 v82, 0x3abb, v50
	v_add_f16_e32 v63, v63, v75
	v_fmamk_f16 v75, v57, 0xb93d, v81
	v_add_f16_e32 v84, v84, v87
	v_fmamk_f16 v87, v32, 0xbbad, v88
	v_mul_f16_e32 v90, 0x3beb, v33
	v_add_f16_e32 v41, v59, v61
	v_fma_f16 v45, v32, 0x3abb, -v64
	v_add_f16_e32 v39, v5, v39
	v_fma_f16 v47, v29, 0xbbad, -v73
	v_add_f16_e32 v48, v4, v74
	v_fmac_f16_e32 v77, 0x3482, v43
	v_add_f16_e32 v23, v24, v23
	v_add_f16_e32 v17, v19, v17
	;; [unrolled: 1-line block ×3, first 2 shown]
	v_fmamk_f16 v79, v54, 0x3853, v82
	v_mul_f16_e32 v86, 0xb93d, v55
	v_add_f16_e32 v63, v63, v75
	v_mul_f16_e32 v75, 0x36a6, v37
	v_add_f16_e32 v84, v84, v87
	v_fmamk_f16 v87, v34, 0xb08e, v90
	v_mul_f16_e32 v93, 0x3853, v52
	v_add_f16_e32 v41, v41, v45
	v_fma_f16 v45, v34, 0xbbad, -v66
	v_add_f16_e32 v39, v39, v47
	v_fma_f16 v47, v32, 0x36a6, -v76
	v_add_f16_e32 v48, v48, v77
	v_fmac_f16_e32 v80, 0x3b47, v49
	v_add_f16_e32 v22, v23, v22
	v_add_f16_e32 v15, v17, v15
	;; [unrolled: 1-line block ×3, first 2 shown]
	v_fmamk_f16 v79, v38, 0x3b47, v75
	v_mul_f16_e32 v89, 0xb93d, v42
	v_fmamk_f16 v95, v60, 0x3a0c, v86
	v_add_f16_e32 v84, v84, v87
	v_fmamk_f16 v87, v57, 0x3abb, v93
	v_mul_f16_e32 v26, 0xb853, v26
	v_mul_f16_e32 v37, 0x3abb, v37
	v_add_f16_e32 v41, v41, v45
	v_fma_f16 v45, v57, 0x36a6, -v69
	v_fmac_f16_e32 v51, 0xba0c, v38
	v_add_f16_e32 v39, v39, v47
	v_fma_f16 v47, v34, 0x3abb, -v78
	v_add_f16_e32 v48, v48, v80
	v_fmac_f16_e32 v82, 0xb853, v54
	v_add_f16_e32 v20, v22, v20
	v_add_f16_e32 v13, v15, v13
	;; [unrolled: 1-line block ×3, first 2 shown]
	v_fmamk_f16 v91, v43, 0x3a0c, v89
	v_mul_f16_e32 v92, 0xbbad, v46
	v_add_f16_e32 v67, v67, v95
	v_add_f16_e32 v84, v84, v87
	v_fmamk_f16 v87, v27, 0x3abb, v26
	v_mul_f16_e32 v28, 0xbb47, v28
	v_fmamk_f16 v95, v38, 0x3853, v37
	v_mul_f16_e32 v42, 0x36a6, v42
	v_add_f16_e32 v41, v41, v45
	v_add_f16_e32 v45, v4, v51
	;; [unrolled: 1-line block ×3, first 2 shown]
	v_fma_f16 v47, v57, 0xb93d, -v81
	v_add_f16_e32 v48, v48, v82
	v_fmac_f16_e32 v86, 0xba0c, v60
	v_fma_f16 v51, v27, 0x36a6, -v83
	v_fma_f16 v15, v27, 0x3abb, -v26
	v_add_f16_e32 v18, v20, v18
	v_add_f16_e32 v11, v13, v11
	v_fmac_f16_e32 v75, 0xbb47, v38
	v_fmac_f16_e32 v37, 0xb853, v38
	v_add_f16_e32 v79, v79, v91
	v_fmamk_f16 v91, v49, 0xb482, v92
	v_mul_f16_e32 v94, 0xb08e, v50
	v_add_f16_e32 v87, v5, v87
	v_fmamk_f16 v96, v29, 0x36a6, v28
	v_mul_f16_e32 v30, 0xbbeb, v30
	;; [unrolled: 3-line block ×3, first 2 shown]
	v_add_f16_e32 v39, v39, v47
	v_add_f16_e32 v47, v48, v86
	;; [unrolled: 1-line block ×4, first 2 shown]
	v_fma_f16 v13, v29, 0x36a6, -v28
	v_add_f16_e32 v15, v16, v18
	v_add_f16_e32 v9, v9, v11
	v_fmac_f16_e32 v65, 0x3beb, v43
	v_fma_f16 v51, v29, 0xb93d, -v85
	v_add_f16_e32 v53, v4, v75
	v_fmac_f16_e32 v89, 0xba0c, v43
	v_add_f16_e32 v4, v4, v37
	v_fmac_f16_e32 v42, 0xbb47, v43
	v_add_f16_e32 v79, v79, v91
	v_fmamk_f16 v91, v54, 0xbbeb, v94
	v_add_f16_e32 v87, v87, v96
	v_fmamk_f16 v96, v32, 0xb08e, v30
	v_mul_f16_e32 v33, 0xba0c, v33
	v_add_f16_e32 v95, v95, v97
	v_fmamk_f16 v97, v49, 0x3beb, v46
	v_mul_f16_e32 v50, 0xb93d, v50
	v_add_f16_e32 v5, v5, v13
	v_add_f16_e32 v13, v14, v15
	;; [unrolled: 1-line block ×4, first 2 shown]
	v_fmac_f16_e32 v68, 0xb853, v49
	v_add_f16_e32 v48, v48, v51
	v_fma_f16 v51, v32, 0xbbad, -v88
	v_add_f16_e32 v21, v53, v89
	v_fmac_f16_e32 v92, 0x3482, v49
	v_fma_f16 v11, v32, 0xb08e, -v30
	v_add_f16_e32 v4, v4, v42
	v_fmac_f16_e32 v46, 0xbbeb, v49
	v_add_f16_e32 v79, v79, v91
	v_mul_f16_e32 v91, 0x3abb, v55
	v_add_f16_e32 v87, v87, v96
	v_fmamk_f16 v96, v34, 0xb93d, v33
	v_mul_f16_e32 v52, 0xb482, v52
	v_add_f16_e32 v95, v95, v97
	v_fmamk_f16 v97, v54, 0x3a0c, v50
	v_mul_f16_e32 v55, 0xbbad, v55
	v_add_f16_e32 v9, v12, v13
	v_add_f16_e32 v7, v7, v8
	;; [unrolled: 1-line block ×3, first 2 shown]
	v_fmac_f16_e32 v70, 0xb482, v54
	v_add_f16_e32 v25, v48, v51
	v_fma_f16 v19, v34, 0xb08e, -v90
	v_add_f16_e32 v21, v21, v92
	v_fmac_f16_e32 v94, 0x3beb, v54
	v_add_f16_e32 v5, v5, v11
	v_fma_f16 v8, v34, 0xb93d, -v33
	v_add_f16_e32 v4, v4, v46
	v_fmac_f16_e32 v50, 0xba0c, v54
	v_fmamk_f16 v98, v60, 0xb853, v91
	v_add_f16_e32 v87, v87, v96
	v_fmamk_f16 v96, v57, 0xbbad, v52
	v_add_f16_e32 v95, v95, v97
	v_fmamk_f16 v97, v60, 0x3482, v55
	v_add_f16_sdwa v9, v10, v9 dst_sel:WORD_1 dst_unused:UNUSED_PAD src0_sel:DWORD src1_sel:DWORD
	v_add_f16_e32 v6, v6, v7
	v_add_f16_e32 v45, v45, v70
	v_fmac_f16_e32 v72, 0x3b47, v60
	v_add_f16_e32 v17, v25, v19
	v_fma_f16 v19, v57, 0x3abb, -v93
	v_add_f16_e32 v21, v21, v94
	v_fmac_f16_e32 v91, 0x3853, v60
	v_add_f16_e32 v5, v5, v8
	v_fma_f16 v7, v57, 0xbbad, -v52
	v_add_f16_e32 v4, v4, v50
	v_fmac_f16_e32 v55, 0xb482, v60
	v_add_f16_e32 v79, v79, v98
	v_add_f16_e32 v87, v87, v96
	;; [unrolled: 1-line block ×3, first 2 shown]
	v_or_b32_sdwa v6, v9, v6 dst_sel:DWORD dst_unused:UNUSED_PAD src0_sel:DWORD src1_sel:WORD_0
	v_mad_u32_u24 v8, v0, 44, 0
	v_add_f16_e32 v45, v45, v72
	v_add_f16_e32 v9, v17, v19
	;; [unrolled: 1-line block ×5, first 2 shown]
	ds_write_b32 v8, v6
	v_pack_b32_f16 v6, v79, v84
	v_pack_b32_f16 v7, v95, v87
	;; [unrolled: 1-line block ×10, first 2 shown]
	ds_write2_b32 v8, v7, v6 offset0:1 offset1:2
	ds_write2_b32 v8, v12, v11 offset0:3 offset1:4
	;; [unrolled: 1-line block ×5, first 2 shown]
.LBB0_15:
	s_or_b32 exec_lo, exec_lo, s1
	v_and_b32_e32 v4, 0xff, v0
	s_waitcnt lgkmcnt(0)
	s_barrier
	buffer_gl0_inv
	v_mov_b32_e32 v16, 0xdc
	v_mul_lo_u16 v4, 0x75, v4
	v_mov_b32_e32 v17, 2
	v_lshrrev_b16 v4, 8, v4
	v_sub_nc_u16 v5, v0, v4
	v_lshrrev_b16 v5, 1, v5
	v_and_b32_e32 v5, 0x7f, v5
	v_add_nc_u16 v4, v5, v4
	v_mov_b32_e32 v5, 4
	v_lshrrev_b16 v13, 3, v4
	v_mul_lo_u16 v4, v13, 11
	v_mul_u32_u24_sdwa v13, v13, v16 dst_sel:DWORD dst_unused:UNUSED_PAD src0_sel:WORD_0 src1_sel:DWORD
	v_sub_nc_u16 v14, v0, v4
	v_lshlrev_b32_sdwa v4, v5, v14 dst_sel:DWORD dst_unused:UNUSED_PAD src0_sel:DWORD src1_sel:BYTE_0
	v_lshlrev_b32_sdwa v14, v17, v14 dst_sel:DWORD dst_unused:UNUSED_PAD src0_sel:DWORD src1_sel:BYTE_0
	global_load_dwordx4 v[5:8], v4, s[8:9]
	v_lshl_add_u32 v4, v0, 2, 0
	v_add3_u32 v13, 0, v13, v14
	ds_read2_b32 v[9:10], v4 offset1:55
	ds_read2_b32 v[11:12], v4 offset0:110 offset1:165
	ds_read_b32 v15, v4 offset:880
	ds_read_u16 v18, v4 offset:2
	s_waitcnt vmcnt(0) lgkmcnt(0)
	s_barrier
	buffer_gl0_inv
	v_lshrrev_b32_e32 v19, 16, v10
	v_lshrrev_b32_e32 v16, 16, v11
	;; [unrolled: 1-line block ×4, first 2 shown]
	v_mul_f16_sdwa v14, v5, v19 dst_sel:DWORD dst_unused:UNUSED_PAD src0_sel:WORD_1 src1_sel:DWORD
	v_mul_f16_sdwa v21, v5, v10 dst_sel:DWORD dst_unused:UNUSED_PAD src0_sel:WORD_1 src1_sel:DWORD
	;; [unrolled: 1-line block ×8, first 2 shown]
	v_fma_f16 v10, v5, v10, -v14
	v_fmac_f16_e32 v21, v5, v19
	v_fma_f16 v5, v6, v11, -v22
	v_fmac_f16_e32 v23, v6, v16
	v_fma_f16 v6, v7, v12, -v24
	v_fmac_f16_e32 v25, v7, v17
	v_fma_f16 v7, v8, v15, -v26
	v_fmac_f16_e32 v27, v8, v20
	v_add_f16_e32 v8, v10, v9
	v_add_f16_e32 v11, v5, v6
	;; [unrolled: 1-line block ×5, first 2 shown]
	v_sub_f16_e32 v12, v21, v27
	v_sub_f16_e32 v15, v10, v5
	;; [unrolled: 1-line block ×4, first 2 shown]
	v_add_f16_e32 v22, v18, v21
	v_sub_f16_e32 v10, v10, v7
	v_sub_f16_e32 v26, v5, v6
	v_add_f16_e32 v5, v8, v5
	v_fma_f16 v8, -0.5, v11, v9
	v_fmac_f16_e32 v9, -0.5, v17
	v_fma_f16 v17, -0.5, v24, v18
	v_sub_f16_e32 v14, v23, v25
	v_sub_f16_e32 v20, v6, v7
	;; [unrolled: 1-line block ×5, first 2 shown]
	v_fmac_f16_e32 v18, -0.5, v30
	v_sub_f16_e32 v29, v27, v25
	v_add_f16_e32 v11, v15, v16
	v_add_f16_e32 v16, v22, v23
	;; [unrolled: 1-line block ×3, first 2 shown]
	v_fmamk_f16 v6, v12, 0x3b9c, v8
	v_fmamk_f16 v22, v10, 0xbb9c, v17
	v_add_f16_e32 v15, v19, v20
	v_add_f16_e32 v20, v21, v31
	v_fmamk_f16 v21, v14, 0xbb9c, v9
	v_fmac_f16_e32 v9, 0x3b9c, v14
	v_fmamk_f16 v23, v26, 0x3b9c, v18
	v_fmac_f16_e32 v18, 0xbb9c, v26
	v_fmac_f16_e32 v8, 0xbb9c, v12
	;; [unrolled: 1-line block ×3, first 2 shown]
	v_add_f16_e32 v19, v28, v29
	v_add_f16_e32 v16, v16, v25
	v_fmac_f16_e32 v6, 0x38b4, v14
	v_fmac_f16_e32 v22, 0xb8b4, v26
	;; [unrolled: 1-line block ×8, first 2 shown]
	v_add_f16_e32 v5, v5, v7
	v_add_f16_e32 v7, v16, v27
	v_fmac_f16_e32 v6, 0x34f2, v11
	v_fmac_f16_e32 v22, 0x34f2, v19
	;; [unrolled: 1-line block ×8, first 2 shown]
	v_pack_b32_f16 v5, v5, v7
	v_pack_b32_f16 v6, v6, v22
	;; [unrolled: 1-line block ×5, first 2 shown]
	ds_write2_b32 v13, v5, v6 offset1:11
	ds_write2_b32 v13, v7, v9 offset0:22 offset1:33
	ds_write_b32 v13, v8 offset:176
	s_waitcnt lgkmcnt(0)
	s_barrier
	buffer_gl0_inv
	s_and_saveexec_b32 s0, vcc_lo
	s_cbranch_execz .LBB0_17
; %bb.16:
	v_lshlrev_b32_e32 v5, 2, v0
	v_mov_b32_e32 v6, 0
	v_mad_u64_u32 v[13:14], null, s12, v3, 0
	v_add_nc_u32_e32 v23, 55, v3
	v_add_nc_u32_e32 v24, 0x6e, v3
	v_lshlrev_b64 v[5:6], 2, v[5:6]
	v_add_nc_u32_e32 v25, 0xa5, v3
	v_add_nc_u32_e32 v26, 0xdc, v3
	v_mad_u64_u32 v[15:16], null, s12, v23, 0
	v_lshlrev_b64 v[1:2], 2, v[1:2]
	v_add_co_u32 v5, vcc_lo, s8, v5
	v_add_co_ci_u32_e32 v6, vcc_lo, s9, v6, vcc_lo
	v_mad_u64_u32 v[17:18], null, s12, v24, 0
	v_mov_b32_e32 v0, v14
	global_load_dwordx4 v[5:8], v[5:6], off offset:176
	v_mad_u64_u32 v[19:20], null, s12, v25, 0
	v_mad_u64_u32 v[21:22], null, s12, v26, 0
	ds_read2_b32 v[9:10], v4 offset1:55
	ds_read2_b32 v[11:12], v4 offset0:110 offset1:165
	ds_read_b32 v27, v4 offset:880
	ds_read_u16 v28, v4 offset:2
	v_mad_u64_u32 v[3:4], null, s13, v3, v[0:1]
	v_mov_b32_e32 v0, v16
	v_mov_b32_e32 v4, v18
	;; [unrolled: 1-line block ×4, first 2 shown]
	v_mad_u64_u32 v[22:23], null, s13, v23, v[0:1]
	s_waitcnt vmcnt(0)
	v_mad_u64_u32 v[23:24], null, s13, v24, v[4:5]
	v_mad_u64_u32 v[24:25], null, s13, v25, v[14:15]
	v_mov_b32_e32 v14, v3
	v_mad_u64_u32 v[25:26], null, s13, v26, v[16:17]
	v_mov_b32_e32 v16, v22
	v_add_co_u32 v4, vcc_lo, s2, v1
	v_lshlrev_b64 v[0:1], 2, v[13:14]
	v_mov_b32_e32 v18, v23
	v_add_co_ci_u32_e32 v26, vcc_lo, s3, v2, vcc_lo
	v_lshlrev_b64 v[2:3], 2, v[15:16]
	v_mov_b32_e32 v20, v24
	v_lshlrev_b64 v[13:14], 2, v[17:18]
	v_add_co_u32 v0, vcc_lo, v4, v0
	v_mov_b32_e32 v22, v25
	v_add_co_ci_u32_e32 v1, vcc_lo, v26, v1, vcc_lo
	v_lshlrev_b64 v[15:16], 2, v[19:20]
	v_add_co_u32 v2, vcc_lo, v4, v2
	v_add_co_ci_u32_e32 v3, vcc_lo, v26, v3, vcc_lo
	v_lshlrev_b64 v[17:18], 2, v[21:22]
	v_add_co_u32 v13, vcc_lo, v4, v13
	v_lshrrev_b32_e32 v19, 16, v5
	v_lshrrev_b32_e32 v20, 16, v6
	;; [unrolled: 1-line block ×4, first 2 shown]
	s_waitcnt lgkmcnt(3)
	v_mul_f16_sdwa v23, v5, v10 dst_sel:DWORD dst_unused:UNUSED_PAD src0_sel:DWORD src1_sel:WORD_1
	s_waitcnt lgkmcnt(2)
	v_mul_f16_sdwa v24, v6, v11 dst_sel:DWORD dst_unused:UNUSED_PAD src0_sel:DWORD src1_sel:WORD_1
	v_mul_f16_sdwa v29, v7, v12 dst_sel:DWORD dst_unused:UNUSED_PAD src0_sel:DWORD src1_sel:WORD_1
	v_add_co_ci_u32_e32 v14, vcc_lo, v26, v14, vcc_lo
	v_add_co_u32 v15, vcc_lo, v4, v15
	v_add_co_ci_u32_e32 v16, vcc_lo, v26, v16, vcc_lo
	s_waitcnt lgkmcnt(1)
	v_mul_f16_sdwa v25, v8, v27 dst_sel:DWORD dst_unused:UNUSED_PAD src0_sel:DWORD src1_sel:WORD_1
	v_add_co_u32 v17, vcc_lo, v4, v17
	v_fmac_f16_e32 v23, v19, v10
	v_fmac_f16_e32 v24, v20, v11
	;; [unrolled: 1-line block ×3, first 2 shown]
	v_mul_f16_sdwa v4, v20, v11 dst_sel:DWORD dst_unused:UNUSED_PAD src0_sel:DWORD src1_sel:WORD_1
	v_mul_f16_sdwa v20, v21, v12 dst_sel:DWORD dst_unused:UNUSED_PAD src0_sel:DWORD src1_sel:WORD_1
	;; [unrolled: 1-line block ×4, first 2 shown]
	v_fmac_f16_e32 v25, v22, v27
	v_fma_f16 v4, v6, v11, -v4
	v_fma_f16 v6, v7, v12, -v20
	;; [unrolled: 1-line block ×4, first 2 shown]
	v_add_co_ci_u32_e32 v18, vcc_lo, v26, v18, vcc_lo
	v_sub_f16_e32 v22, v23, v24
	v_sub_f16_e32 v26, v25, v29
	v_sub_f16_e32 v12, v24, v23
	v_sub_f16_e32 v19, v29, v25
	v_add_f16_e32 v20, v23, v25
	v_add_f16_e32 v8, v24, v29
	v_sub_f16_e32 v27, v5, v4
	v_sub_f16_e32 v30, v7, v6
	v_add_f16_e32 v31, v4, v6
	v_add_f16_e32 v32, v5, v7
	s_waitcnt lgkmcnt(0)
	v_add_f16_e32 v21, v23, v28
	v_add_f16_e32 v22, v22, v26
	v_sub_f16_e32 v26, v5, v7
	v_add_f16_e32 v12, v12, v19
	v_fma_f16 v19, -0.5, v20, v28
	v_sub_f16_e32 v20, v4, v5
	v_add_f16_e32 v5, v5, v9
	v_sub_f16_e32 v10, v23, v25
	v_fma_f16 v8, -0.5, v8, v28
	v_add_f16_e32 v27, v27, v30
	v_fma_f16 v30, -0.5, v31, v9
	v_sub_f16_e32 v11, v24, v29
	v_sub_f16_e32 v23, v4, v6
	;; [unrolled: 1-line block ×3, first 2 shown]
	v_fma_f16 v9, -0.5, v32, v9
	v_add_f16_e32 v21, v24, v21
	v_add_f16_e32 v4, v4, v5
	v_fmamk_f16 v24, v26, 0x3b9c, v8
	v_fmac_f16_e32 v8, 0xbb9c, v26
	v_fmamk_f16 v5, v10, 0xbb9c, v30
	v_fmac_f16_e32 v30, 0x3b9c, v10
	v_fmamk_f16 v31, v23, 0xbb9c, v19
	v_add_f16_e32 v20, v20, v28
	v_fmac_f16_e32 v19, 0x3b9c, v23
	v_fmamk_f16 v28, v11, 0x3b9c, v9
	v_fmac_f16_e32 v9, 0xbb9c, v11
	v_add_f16_e32 v21, v21, v29
	v_add_f16_e32 v4, v6, v4
	v_fmac_f16_e32 v8, 0xb8b4, v23
	v_fmac_f16_e32 v30, 0x38b4, v11
	v_fmac_f16_e32 v19, 0xb8b4, v26
	v_fmac_f16_e32 v9, 0x38b4, v10
	v_fmac_f16_e32 v31, 0x38b4, v26
	v_fmac_f16_e32 v28, 0xb8b4, v10
	v_fmac_f16_e32 v24, 0x38b4, v23
	v_fmac_f16_e32 v5, 0xb8b4, v11
	v_add_f16_e32 v21, v25, v21
	v_add_f16_e32 v4, v7, v4
	v_fmac_f16_e32 v8, 0x34f2, v22
	v_fmac_f16_e32 v30, 0x34f2, v27
	;; [unrolled: 1-line block ×8, first 2 shown]
	v_pack_b32_f16 v4, v4, v21
	v_pack_b32_f16 v6, v30, v8
	;; [unrolled: 1-line block ×5, first 2 shown]
	global_store_dword v[0:1], v4, off
	global_store_dword v[2:3], v6, off
	;; [unrolled: 1-line block ×5, first 2 shown]
.LBB0_17:
	s_endpgm
	.section	.rodata,"a",@progbits
	.p2align	6, 0x0
	.amdhsa_kernel fft_rtc_fwd_len275_factors_11_5_5_wgs_55_tpt_55_half_ip_CI_sbrr_dirReg
		.amdhsa_group_segment_fixed_size 0
		.amdhsa_private_segment_fixed_size 0
		.amdhsa_kernarg_size 88
		.amdhsa_user_sgpr_count 6
		.amdhsa_user_sgpr_private_segment_buffer 1
		.amdhsa_user_sgpr_dispatch_ptr 0
		.amdhsa_user_sgpr_queue_ptr 0
		.amdhsa_user_sgpr_kernarg_segment_ptr 1
		.amdhsa_user_sgpr_dispatch_id 0
		.amdhsa_user_sgpr_flat_scratch_init 0
		.amdhsa_user_sgpr_private_segment_size 0
		.amdhsa_wavefront_size32 1
		.amdhsa_uses_dynamic_stack 0
		.amdhsa_system_sgpr_private_segment_wavefront_offset 0
		.amdhsa_system_sgpr_workgroup_id_x 1
		.amdhsa_system_sgpr_workgroup_id_y 0
		.amdhsa_system_sgpr_workgroup_id_z 0
		.amdhsa_system_sgpr_workgroup_info 0
		.amdhsa_system_vgpr_workitem_id 0
		.amdhsa_next_free_vgpr 99
		.amdhsa_next_free_sgpr 23
		.amdhsa_reserve_vcc 1
		.amdhsa_reserve_flat_scratch 0
		.amdhsa_float_round_mode_32 0
		.amdhsa_float_round_mode_16_64 0
		.amdhsa_float_denorm_mode_32 3
		.amdhsa_float_denorm_mode_16_64 3
		.amdhsa_dx10_clamp 1
		.amdhsa_ieee_mode 1
		.amdhsa_fp16_overflow 0
		.amdhsa_workgroup_processor_mode 1
		.amdhsa_memory_ordered 1
		.amdhsa_forward_progress 0
		.amdhsa_shared_vgpr_count 0
		.amdhsa_exception_fp_ieee_invalid_op 0
		.amdhsa_exception_fp_denorm_src 0
		.amdhsa_exception_fp_ieee_div_zero 0
		.amdhsa_exception_fp_ieee_overflow 0
		.amdhsa_exception_fp_ieee_underflow 0
		.amdhsa_exception_fp_ieee_inexact 0
		.amdhsa_exception_int_div_zero 0
	.end_amdhsa_kernel
	.text
.Lfunc_end0:
	.size	fft_rtc_fwd_len275_factors_11_5_5_wgs_55_tpt_55_half_ip_CI_sbrr_dirReg, .Lfunc_end0-fft_rtc_fwd_len275_factors_11_5_5_wgs_55_tpt_55_half_ip_CI_sbrr_dirReg
                                        ; -- End function
	.section	.AMDGPU.csdata,"",@progbits
; Kernel info:
; codeLenInByte = 5656
; NumSgprs: 25
; NumVgprs: 99
; ScratchSize: 0
; MemoryBound: 0
; FloatMode: 240
; IeeeMode: 1
; LDSByteSize: 0 bytes/workgroup (compile time only)
; SGPRBlocks: 3
; VGPRBlocks: 12
; NumSGPRsForWavesPerEU: 25
; NumVGPRsForWavesPerEU: 99
; Occupancy: 9
; WaveLimiterHint : 1
; COMPUTE_PGM_RSRC2:SCRATCH_EN: 0
; COMPUTE_PGM_RSRC2:USER_SGPR: 6
; COMPUTE_PGM_RSRC2:TRAP_HANDLER: 0
; COMPUTE_PGM_RSRC2:TGID_X_EN: 1
; COMPUTE_PGM_RSRC2:TGID_Y_EN: 0
; COMPUTE_PGM_RSRC2:TGID_Z_EN: 0
; COMPUTE_PGM_RSRC2:TIDIG_COMP_CNT: 0
	.text
	.p2alignl 6, 3214868480
	.fill 48, 4, 3214868480
	.type	__hip_cuid_1b9625afda2a6b81,@object ; @__hip_cuid_1b9625afda2a6b81
	.section	.bss,"aw",@nobits
	.globl	__hip_cuid_1b9625afda2a6b81
__hip_cuid_1b9625afda2a6b81:
	.byte	0                               ; 0x0
	.size	__hip_cuid_1b9625afda2a6b81, 1

	.ident	"AMD clang version 19.0.0git (https://github.com/RadeonOpenCompute/llvm-project roc-6.4.0 25133 c7fe45cf4b819c5991fe208aaa96edf142730f1d)"
	.section	".note.GNU-stack","",@progbits
	.addrsig
	.addrsig_sym __hip_cuid_1b9625afda2a6b81
	.amdgpu_metadata
---
amdhsa.kernels:
  - .args:
      - .actual_access:  read_only
        .address_space:  global
        .offset:         0
        .size:           8
        .value_kind:     global_buffer
      - .offset:         8
        .size:           8
        .value_kind:     by_value
      - .actual_access:  read_only
        .address_space:  global
        .offset:         16
        .size:           8
        .value_kind:     global_buffer
      - .actual_access:  read_only
        .address_space:  global
        .offset:         24
        .size:           8
        .value_kind:     global_buffer
      - .offset:         32
        .size:           8
        .value_kind:     by_value
      - .actual_access:  read_only
        .address_space:  global
        .offset:         40
        .size:           8
        .value_kind:     global_buffer
      - .actual_access:  read_only
        .address_space:  global
        .offset:         48
        .size:           8
        .value_kind:     global_buffer
      - .offset:         56
        .size:           4
        .value_kind:     by_value
      - .actual_access:  read_only
        .address_space:  global
        .offset:         64
        .size:           8
        .value_kind:     global_buffer
      - .actual_access:  read_only
        .address_space:  global
        .offset:         72
        .size:           8
        .value_kind:     global_buffer
      - .address_space:  global
        .offset:         80
        .size:           8
        .value_kind:     global_buffer
    .group_segment_fixed_size: 0
    .kernarg_segment_align: 8
    .kernarg_segment_size: 88
    .language:       OpenCL C
    .language_version:
      - 2
      - 0
    .max_flat_workgroup_size: 55
    .name:           fft_rtc_fwd_len275_factors_11_5_5_wgs_55_tpt_55_half_ip_CI_sbrr_dirReg
    .private_segment_fixed_size: 0
    .sgpr_count:     25
    .sgpr_spill_count: 0
    .symbol:         fft_rtc_fwd_len275_factors_11_5_5_wgs_55_tpt_55_half_ip_CI_sbrr_dirReg.kd
    .uniform_work_group_size: 1
    .uses_dynamic_stack: false
    .vgpr_count:     99
    .vgpr_spill_count: 0
    .wavefront_size: 32
    .workgroup_processor_mode: 1
amdhsa.target:   amdgcn-amd-amdhsa--gfx1030
amdhsa.version:
  - 1
  - 2
...

	.end_amdgpu_metadata
